;; amdgpu-corpus repo=ROCm/rocFFT kind=compiled arch=gfx906 opt=O3
	.text
	.amdgcn_target "amdgcn-amd-amdhsa--gfx906"
	.amdhsa_code_object_version 6
	.protected	fft_rtc_back_len800_factors_16_5_10_wgs_160_tpt_160_halfLds_dp_op_CI_CI_sbrr_dirReg ; -- Begin function fft_rtc_back_len800_factors_16_5_10_wgs_160_tpt_160_halfLds_dp_op_CI_CI_sbrr_dirReg
	.globl	fft_rtc_back_len800_factors_16_5_10_wgs_160_tpt_160_halfLds_dp_op_CI_CI_sbrr_dirReg
	.p2align	8
	.type	fft_rtc_back_len800_factors_16_5_10_wgs_160_tpt_160_halfLds_dp_op_CI_CI_sbrr_dirReg,@function
fft_rtc_back_len800_factors_16_5_10_wgs_160_tpt_160_halfLds_dp_op_CI_CI_sbrr_dirReg: ; @fft_rtc_back_len800_factors_16_5_10_wgs_160_tpt_160_halfLds_dp_op_CI_CI_sbrr_dirReg
; %bb.0:
	s_load_dwordx4 s[16:19], s[4:5], 0x18
	s_load_dwordx4 s[12:15], s[4:5], 0x0
	;; [unrolled: 1-line block ×3, first 2 shown]
	v_mul_u32_u24_e32 v1, 0x19a, v0
	v_add_u32_sdwa v6, s6, v1 dst_sel:DWORD dst_unused:UNUSED_PAD src0_sel:DWORD src1_sel:WORD_1
	s_waitcnt lgkmcnt(0)
	s_load_dwordx2 s[22:23], s[16:17], 0x0
	s_load_dwordx2 s[20:21], s[18:19], 0x0
	v_cmp_lt_u64_e64 s[0:1], s[14:15], 2
	v_mov_b32_e32 v1, 0
	v_mov_b32_e32 v4, 0
	;; [unrolled: 1-line block ×3, first 2 shown]
	s_and_b64 vcc, exec, s[0:1]
	v_mov_b32_e32 v5, 0
	s_cbranch_vccnz .LBB0_8
; %bb.1:
	s_load_dwordx2 s[0:1], s[4:5], 0x10
	s_add_u32 s2, s18, 8
	s_addc_u32 s3, s19, 0
	s_add_u32 s6, s16, 8
	v_mov_b32_e32 v4, 0
	s_addc_u32 s7, s17, 0
	v_mov_b32_e32 v5, 0
	s_waitcnt lgkmcnt(0)
	s_add_u32 s24, s0, 8
	v_mov_b32_e32 v67, v5
	s_addc_u32 s25, s1, 0
	s_mov_b64 s[26:27], 1
	v_mov_b32_e32 v66, v4
.LBB0_2:                                ; =>This Inner Loop Header: Depth=1
	s_load_dwordx2 s[28:29], s[24:25], 0x0
                                        ; implicit-def: $vgpr68_vgpr69
	s_waitcnt lgkmcnt(0)
	v_or_b32_e32 v2, s29, v7
	v_cmp_ne_u64_e32 vcc, 0, v[1:2]
	s_and_saveexec_b64 s[0:1], vcc
	s_xor_b64 s[30:31], exec, s[0:1]
	s_cbranch_execz .LBB0_4
; %bb.3:                                ;   in Loop: Header=BB0_2 Depth=1
	v_cvt_f32_u32_e32 v2, s28
	v_cvt_f32_u32_e32 v3, s29
	s_sub_u32 s0, 0, s28
	s_subb_u32 s1, 0, s29
	v_mac_f32_e32 v2, 0x4f800000, v3
	v_rcp_f32_e32 v2, v2
	v_mul_f32_e32 v2, 0x5f7ffffc, v2
	v_mul_f32_e32 v3, 0x2f800000, v2
	v_trunc_f32_e32 v3, v3
	v_mac_f32_e32 v2, 0xcf800000, v3
	v_cvt_u32_f32_e32 v3, v3
	v_cvt_u32_f32_e32 v2, v2
	v_mul_lo_u32 v8, s0, v3
	v_mul_hi_u32 v9, s0, v2
	v_mul_lo_u32 v11, s1, v2
	v_mul_lo_u32 v10, s0, v2
	v_add_u32_e32 v8, v9, v8
	v_add_u32_e32 v8, v8, v11
	v_mul_hi_u32 v9, v2, v10
	v_mul_lo_u32 v11, v2, v8
	v_mul_hi_u32 v13, v2, v8
	v_mul_hi_u32 v12, v3, v10
	v_mul_lo_u32 v10, v3, v10
	v_mul_hi_u32 v14, v3, v8
	v_add_co_u32_e32 v9, vcc, v9, v11
	v_addc_co_u32_e32 v11, vcc, 0, v13, vcc
	v_mul_lo_u32 v8, v3, v8
	v_add_co_u32_e32 v9, vcc, v9, v10
	v_addc_co_u32_e32 v9, vcc, v11, v12, vcc
	v_addc_co_u32_e32 v10, vcc, 0, v14, vcc
	v_add_co_u32_e32 v8, vcc, v9, v8
	v_addc_co_u32_e32 v9, vcc, 0, v10, vcc
	v_add_co_u32_e32 v2, vcc, v2, v8
	v_addc_co_u32_e32 v3, vcc, v3, v9, vcc
	v_mul_lo_u32 v8, s0, v3
	v_mul_hi_u32 v9, s0, v2
	v_mul_lo_u32 v10, s1, v2
	v_mul_lo_u32 v11, s0, v2
	v_add_u32_e32 v8, v9, v8
	v_add_u32_e32 v8, v8, v10
	v_mul_lo_u32 v12, v2, v8
	v_mul_hi_u32 v13, v2, v11
	v_mul_hi_u32 v14, v2, v8
	;; [unrolled: 1-line block ×3, first 2 shown]
	v_mul_lo_u32 v11, v3, v11
	v_mul_hi_u32 v9, v3, v8
	v_add_co_u32_e32 v12, vcc, v13, v12
	v_addc_co_u32_e32 v13, vcc, 0, v14, vcc
	v_mul_lo_u32 v8, v3, v8
	v_add_co_u32_e32 v11, vcc, v12, v11
	v_addc_co_u32_e32 v10, vcc, v13, v10, vcc
	v_addc_co_u32_e32 v9, vcc, 0, v9, vcc
	v_add_co_u32_e32 v8, vcc, v10, v8
	v_addc_co_u32_e32 v9, vcc, 0, v9, vcc
	v_add_co_u32_e32 v8, vcc, v2, v8
	v_addc_co_u32_e32 v9, vcc, v3, v9, vcc
	v_mad_u64_u32 v[2:3], s[0:1], v6, v9, 0
	v_mul_hi_u32 v10, v6, v8
	v_add_co_u32_e32 v10, vcc, v10, v2
	v_addc_co_u32_e32 v11, vcc, 0, v3, vcc
	v_mad_u64_u32 v[2:3], s[0:1], v7, v8, 0
	v_mad_u64_u32 v[8:9], s[0:1], v7, v9, 0
	v_add_co_u32_e32 v2, vcc, v10, v2
	v_addc_co_u32_e32 v2, vcc, v11, v3, vcc
	v_addc_co_u32_e32 v3, vcc, 0, v9, vcc
	v_add_co_u32_e32 v8, vcc, v2, v8
	v_addc_co_u32_e32 v9, vcc, 0, v3, vcc
	v_mul_lo_u32 v10, s29, v8
	v_mul_lo_u32 v11, s28, v9
	v_mad_u64_u32 v[2:3], s[0:1], s28, v8, 0
	v_add3_u32 v3, v3, v11, v10
	v_sub_u32_e32 v10, v7, v3
	v_mov_b32_e32 v11, s29
	v_sub_co_u32_e32 v2, vcc, v6, v2
	v_subb_co_u32_e64 v10, s[0:1], v10, v11, vcc
	v_subrev_co_u32_e64 v11, s[0:1], s28, v2
	v_subbrev_co_u32_e64 v10, s[0:1], 0, v10, s[0:1]
	v_cmp_le_u32_e64 s[0:1], s29, v10
	v_cndmask_b32_e64 v12, 0, -1, s[0:1]
	v_cmp_le_u32_e64 s[0:1], s28, v11
	v_cndmask_b32_e64 v11, 0, -1, s[0:1]
	v_cmp_eq_u32_e64 s[0:1], s29, v10
	v_cndmask_b32_e64 v10, v12, v11, s[0:1]
	v_add_co_u32_e64 v11, s[0:1], 2, v8
	v_addc_co_u32_e64 v12, s[0:1], 0, v9, s[0:1]
	v_add_co_u32_e64 v13, s[0:1], 1, v8
	v_addc_co_u32_e64 v14, s[0:1], 0, v9, s[0:1]
	v_subb_co_u32_e32 v3, vcc, v7, v3, vcc
	v_cmp_ne_u32_e64 s[0:1], 0, v10
	v_cmp_le_u32_e32 vcc, s29, v3
	v_cndmask_b32_e64 v10, v14, v12, s[0:1]
	v_cndmask_b32_e64 v12, 0, -1, vcc
	v_cmp_le_u32_e32 vcc, s28, v2
	v_cndmask_b32_e64 v2, 0, -1, vcc
	v_cmp_eq_u32_e32 vcc, s29, v3
	v_cndmask_b32_e32 v2, v12, v2, vcc
	v_cmp_ne_u32_e32 vcc, 0, v2
	v_cndmask_b32_e64 v2, v13, v11, s[0:1]
	v_cndmask_b32_e32 v69, v9, v10, vcc
	v_cndmask_b32_e32 v68, v8, v2, vcc
.LBB0_4:                                ;   in Loop: Header=BB0_2 Depth=1
	s_andn2_saveexec_b64 s[0:1], s[30:31]
	s_cbranch_execz .LBB0_6
; %bb.5:                                ;   in Loop: Header=BB0_2 Depth=1
	v_cvt_f32_u32_e32 v2, s28
	s_sub_i32 s30, 0, s28
	v_mov_b32_e32 v69, v1
	v_rcp_iflag_f32_e32 v2, v2
	v_mul_f32_e32 v2, 0x4f7ffffe, v2
	v_cvt_u32_f32_e32 v2, v2
	v_mul_lo_u32 v3, s30, v2
	v_mul_hi_u32 v3, v2, v3
	v_add_u32_e32 v2, v2, v3
	v_mul_hi_u32 v2, v6, v2
	v_mul_lo_u32 v3, v2, s28
	v_add_u32_e32 v8, 1, v2
	v_sub_u32_e32 v3, v6, v3
	v_subrev_u32_e32 v9, s28, v3
	v_cmp_le_u32_e32 vcc, s28, v3
	v_cndmask_b32_e32 v3, v3, v9, vcc
	v_cndmask_b32_e32 v2, v2, v8, vcc
	v_add_u32_e32 v8, 1, v2
	v_cmp_le_u32_e32 vcc, s28, v3
	v_cndmask_b32_e32 v68, v2, v8, vcc
.LBB0_6:                                ;   in Loop: Header=BB0_2 Depth=1
	s_or_b64 exec, exec, s[0:1]
	v_mul_lo_u32 v8, v69, s28
	v_mul_lo_u32 v9, v68, s29
	v_mad_u64_u32 v[2:3], s[0:1], v68, s28, 0
	s_load_dwordx2 s[0:1], s[6:7], 0x0
	s_load_dwordx2 s[28:29], s[2:3], 0x0
	v_add3_u32 v3, v3, v9, v8
	v_sub_co_u32_e32 v2, vcc, v6, v2
	v_subb_co_u32_e32 v3, vcc, v7, v3, vcc
	s_waitcnt lgkmcnt(0)
	v_mul_lo_u32 v6, s0, v3
	v_mul_lo_u32 v7, s1, v2
	v_mad_u64_u32 v[4:5], s[0:1], s0, v2, v[4:5]
	v_mul_lo_u32 v3, s28, v3
	v_mul_lo_u32 v8, s29, v2
	v_mad_u64_u32 v[66:67], s[0:1], s28, v2, v[66:67]
	s_add_u32 s26, s26, 1
	s_addc_u32 s27, s27, 0
	s_add_u32 s2, s2, 8
	v_add3_u32 v67, v8, v67, v3
	s_addc_u32 s3, s3, 0
	v_mov_b32_e32 v2, s14
	s_add_u32 s6, s6, 8
	v_mov_b32_e32 v3, s15
	s_addc_u32 s7, s7, 0
	v_cmp_ge_u64_e32 vcc, s[26:27], v[2:3]
	s_add_u32 s24, s24, 8
	v_add3_u32 v5, v7, v5, v6
	s_addc_u32 s25, s25, 0
	s_cbranch_vccnz .LBB0_9
; %bb.7:                                ;   in Loop: Header=BB0_2 Depth=1
	v_mov_b32_e32 v6, v68
	v_mov_b32_e32 v7, v69
	s_branch .LBB0_2
.LBB0_8:
	v_mov_b32_e32 v67, v5
	v_mov_b32_e32 v69, v7
	;; [unrolled: 1-line block ×4, first 2 shown]
.LBB0_9:
	s_load_dwordx2 s[0:1], s[4:5], 0x28
	s_mov_b32 s4, 0x199999a
	v_mul_hi_u32 v1, v0, s4
	s_lshl_b64 s[2:3], s[14:15], 3
	s_add_u32 s4, s18, s2
	s_waitcnt lgkmcnt(0)
	v_cmp_gt_u64_e32 vcc, s[0:1], v[68:69]
	v_mul_u32_u24_e32 v1, 0xa0, v1
	v_sub_u32_e32 v88, v0, v1
	v_cmp_gt_u32_e64 s[0:1], 50, v88
	s_addc_u32 s5, s19, s3
	s_and_b64 s[14:15], vcc, s[0:1]
                                        ; implicit-def: $vgpr24_vgpr25
                                        ; implicit-def: $vgpr32_vgpr33
                                        ; implicit-def: $vgpr2_vgpr3
                                        ; implicit-def: $vgpr12_vgpr13
                                        ; implicit-def: $vgpr28_vgpr29
                                        ; implicit-def: $vgpr6_vgpr7
                                        ; implicit-def: $vgpr16_vgpr17
                                        ; implicit-def: $vgpr56_vgpr57
                                        ; implicit-def: $vgpr36_vgpr37
                                        ; implicit-def: $vgpr60_vgpr61
                                        ; implicit-def: $vgpr44_vgpr45
                                        ; implicit-def: $vgpr64_vgpr65
                                        ; implicit-def: $vgpr40_vgpr41
                                        ; implicit-def: $vgpr52_vgpr53
                                        ; implicit-def: $vgpr48_vgpr49
                                        ; implicit-def: $vgpr20_vgpr21
	s_and_saveexec_b64 s[6:7], s[14:15]
	s_cbranch_execz .LBB0_11
; %bb.10:
	s_add_u32 s2, s16, s2
	s_addc_u32 s3, s17, s3
	s_load_dwordx2 s[2:3], s[2:3], 0x0
	v_mad_u64_u32 v[0:1], s[14:15], s22, v88, 0
	s_waitcnt lgkmcnt(0)
	v_mul_lo_u32 v8, s3, v68
	v_mul_lo_u32 v9, s2, v69
	v_mad_u64_u32 v[2:3], s[2:3], s2, v68, 0
	v_mad_u64_u32 v[6:7], s[2:3], s23, v88, v[1:2]
	v_add3_u32 v3, v3, v9, v8
	v_lshlrev_b64 v[2:3], 4, v[2:3]
	v_mov_b32_e32 v1, v6
	v_mov_b32_e32 v6, s9
	v_add_co_u32_e64 v7, s[2:3], s8, v2
	v_add_u32_e32 v8, 50, v88
	v_addc_co_u32_e64 v6, s[2:3], v6, v3, s[2:3]
	v_lshlrev_b64 v[2:3], 4, v[4:5]
	v_mad_u64_u32 v[4:5], s[2:3], s22, v8, 0
	v_add_co_u32_e64 v10, s[2:3], v7, v2
	v_mov_b32_e32 v2, v5
	v_addc_co_u32_e64 v11, s[2:3], v6, v3, s[2:3]
	v_mad_u64_u32 v[2:3], s[2:3], s23, v8, v[2:3]
	v_add_u32_e32 v3, 0x64, v88
	v_mad_u64_u32 v[6:7], s[2:3], s22, v3, 0
	v_lshlrev_b64 v[0:1], 4, v[0:1]
	v_mov_b32_e32 v5, v2
	v_add_co_u32_e64 v8, s[2:3], v10, v0
	v_mov_b32_e32 v2, v7
	v_addc_co_u32_e64 v9, s[2:3], v11, v1, s[2:3]
	v_lshlrev_b64 v[0:1], 4, v[4:5]
	v_mad_u64_u32 v[2:3], s[2:3], s23, v3, v[2:3]
	v_add_u32_e32 v5, 0x96, v88
	v_mad_u64_u32 v[3:4], s[2:3], s22, v5, 0
	v_add_co_u32_e64 v38, s[2:3], v10, v0
	v_mov_b32_e32 v7, v2
	v_mov_b32_e32 v2, v4
	v_addc_co_u32_e64 v39, s[2:3], v11, v1, s[2:3]
	v_lshlrev_b64 v[0:1], 4, v[6:7]
	v_mad_u64_u32 v[4:5], s[2:3], s23, v5, v[2:3]
	v_add_u32_e32 v7, 0xc8, v88
	v_mad_u64_u32 v[5:6], s[2:3], s22, v7, 0
	v_add_co_u32_e64 v40, s[2:3], v10, v0
	v_mov_b32_e32 v2, v6
	v_addc_co_u32_e64 v41, s[2:3], v11, v1, s[2:3]
	v_lshlrev_b64 v[0:1], 4, v[3:4]
	v_mad_u64_u32 v[2:3], s[2:3], s23, v7, v[2:3]
	v_add_u32_e32 v7, 0xfa, v88
	v_mad_u64_u32 v[3:4], s[2:3], s22, v7, 0
	v_add_co_u32_e64 v70, s[2:3], v10, v0
	v_mov_b32_e32 v6, v2
	v_mov_b32_e32 v2, v4
	v_addc_co_u32_e64 v71, s[2:3], v11, v1, s[2:3]
	v_lshlrev_b64 v[0:1], 4, v[5:6]
	v_mad_u64_u32 v[4:5], s[2:3], s23, v7, v[2:3]
	v_add_u32_e32 v7, 0x12c, v88
	v_mad_u64_u32 v[5:6], s[2:3], s22, v7, 0
	;; [unrolled: 15-line block ×6, first 2 shown]
	v_add_co_u32_e64 v89, s[2:3], v10, v0
	v_mov_b32_e32 v2, v6
	v_addc_co_u32_e64 v90, s[2:3], v11, v1, s[2:3]
	v_lshlrev_b64 v[0:1], 4, v[3:4]
	v_mad_u64_u32 v[2:3], s[2:3], s23, v7, v[2:3]
	v_add_u32_e32 v7, 0x2ee, v88
	v_mad_u64_u32 v[3:4], s[2:3], s22, v7, 0
	v_add_co_u32_e64 v91, s[2:3], v10, v0
	v_mov_b32_e32 v6, v2
	v_mov_b32_e32 v2, v4
	v_addc_co_u32_e64 v92, s[2:3], v11, v1, s[2:3]
	v_lshlrev_b64 v[0:1], 4, v[5:6]
	v_mad_u64_u32 v[4:5], s[2:3], s23, v7, v[2:3]
	v_add_co_u32_e64 v93, s[2:3], v10, v0
	v_addc_co_u32_e64 v94, s[2:3], v11, v1, s[2:3]
	v_lshlrev_b64 v[0:1], 4, v[3:4]
	v_add_co_u32_e64 v95, s[2:3], v10, v0
	v_addc_co_u32_e64 v96, s[2:3], v11, v1, s[2:3]
	global_load_dwordx4 v[18:21], v[8:9], off
	global_load_dwordx4 v[22:25], v[38:39], off
	;; [unrolled: 1-line block ×15, first 2 shown]
                                        ; kill: killed $vgpr84 killed $vgpr85
                                        ; kill: killed $vgpr40 killed $vgpr41
                                        ; kill: killed $vgpr86 killed $vgpr87
                                        ; kill: killed $vgpr70 killed $vgpr71
                                        ; kill: killed $vgpr89 killed $vgpr90
                                        ; kill: killed $vgpr72 killed $vgpr73
                                        ; kill: killed $vgpr91 killed $vgpr92
                                        ; kill: killed $vgpr74 killed $vgpr75
                                        ; kill: killed $vgpr93 killed $vgpr94
                                        ; kill: killed $vgpr76 killed $vgpr77
                                        ; kill: killed $vgpr78 killed $vgpr79
                                        ; kill: killed $vgpr80 killed $vgpr81
                                        ; kill: killed $vgpr8 killed $vgpr9
                                        ; kill: killed $vgpr82 killed $vgpr83
                                        ; kill: killed $vgpr38 killed $vgpr39
	global_load_dwordx4 v[38:41], v[95:96], off
.LBB0_11:
	s_or_b64 exec, exec, s[6:7]
	s_waitcnt vmcnt(7)
	v_add_f64 v[70:71], v[18:19], -v[14:15]
	s_waitcnt vmcnt(5)
	v_add_f64 v[56:57], v[32:33], -v[56:57]
	;; [unrolled: 2-line block ×3, first 2 shown]
	v_add_f64 v[58:59], v[30:31], -v[54:55]
	v_add_f64 v[54:55], v[12:13], -v[60:61]
	s_waitcnt vmcnt(1)
	v_add_f64 v[60:61], v[46:47], -v[62:63]
	v_add_f64 v[62:63], v[48:49], -v[64:65]
	;; [unrolled: 1-line block ×3, first 2 shown]
	v_fma_f64 v[64:65], v[18:19], 2.0, -v[70:71]
	v_fma_f64 v[18:19], v[32:33], 2.0, -v[56:57]
	v_add_f64 v[32:33], v[24:25], -v[52:53]
	v_fma_f64 v[8:9], v[10:11], 2.0, -v[14:15]
	v_add_f64 v[10:11], v[22:23], -v[50:51]
	v_fma_f64 v[50:51], v[30:31], 2.0, -v[58:59]
	v_fma_f64 v[30:31], v[46:47], 2.0, -v[60:61]
	;; [unrolled: 1-line block ×3, first 2 shown]
	v_add_f64 v[44:45], v[28:29], -v[44:45]
	v_add_f64 v[34:35], v[0:1], -v[34:35]
	v_fma_f64 v[48:49], v[24:25], 2.0, -v[32:33]
	v_fma_f64 v[24:25], v[26:27], 2.0, -v[42:43]
	v_add_f64 v[26:27], v[54:55], v[70:71]
	s_waitcnt vmcnt(0)
	v_add_f64 v[40:41], v[6:7], -v[40:41]
	v_fma_f64 v[22:23], v[22:23], 2.0, -v[10:11]
	v_add_f64 v[36:37], v[2:3], -v[36:37]
	v_add_f64 v[38:39], v[4:5], -v[38:39]
	;; [unrolled: 1-line block ×3, first 2 shown]
	v_add_f64 v[74:75], v[58:59], v[62:63]
	v_add_f64 v[78:79], v[56:57], -v[60:61]
	v_fma_f64 v[60:61], v[70:71], 2.0, -v[26:27]
	v_add_f64 v[70:71], v[44:45], v[10:11]
	v_add_f64 v[89:90], v[32:33], -v[42:43]
	v_add_f64 v[62:63], v[34:35], v[40:41]
	v_fma_f64 v[28:29], v[28:29], 2.0, -v[44:45]
	v_fma_f64 v[0:1], v[0:1], 2.0, -v[34:35]
	;; [unrolled: 1-line block ×4, first 2 shown]
	v_add_f64 v[44:45], v[36:37], -v[38:39]
	v_fma_f64 v[64:65], v[58:59], 2.0, -v[74:75]
	v_add_f64 v[80:81], v[22:23], -v[24:25]
	v_fma_f64 v[10:11], v[10:11], 2.0, -v[70:71]
	v_fma_f64 v[24:25], v[32:33], 2.0, -v[89:90]
	;; [unrolled: 1-line block ×3, first 2 shown]
	s_mov_b32 s8, 0x667f3bcd
	s_mov_b32 s9, 0x3fe6a09e
	;; [unrolled: 1-line block ×4, first 2 shown]
	v_fma_f64 v[76:77], v[56:57], 2.0, -v[78:79]
	v_add_f64 v[4:5], v[0:1], -v[4:5]
	v_fma_f64 v[34:35], v[36:37], 2.0, -v[44:45]
	v_fma_f64 v[38:39], v[64:65], s[6:7], v[60:61]
	v_fma_f64 v[42:43], v[32:33], s[6:7], v[10:11]
	v_add_f64 v[30:31], v[50:51], -v[30:31]
	v_fma_f64 v[22:23], v[22:23], 2.0, -v[80:81]
	v_fma_f64 v[2:3], v[2:3], 2.0, -v[36:37]
	;; [unrolled: 1-line block ×4, first 2 shown]
	v_fma_f64 v[58:59], v[34:35], s[6:7], v[24:25]
	v_fma_f64 v[91:92], v[76:77], s[8:9], v[38:39]
	;; [unrolled: 1-line block ×3, first 2 shown]
	v_fma_f64 v[50:51], v[50:51], 2.0, -v[30:31]
	v_add_f64 v[34:35], v[18:19], -v[46:47]
	s_mov_b32 s2, 0xcf328d46
	v_fma_f64 v[46:47], v[44:45], s[8:9], v[89:90]
	v_add_f64 v[36:37], v[22:23], -v[0:1]
	v_fma_f64 v[32:33], v[32:33], s[6:7], v[58:59]
	v_add_f64 v[0:1], v[2:3], -v[6:7]
	v_fma_f64 v[6:7], v[62:63], s[8:9], v[70:71]
	v_fma_f64 v[60:61], v[60:61], 2.0, -v[91:92]
	v_fma_f64 v[40:41], v[10:11], 2.0, -v[38:39]
	v_fma_f64 v[10:11], v[74:75], s[8:9], v[26:27]
	s_mov_b32 s3, 0xbfed906b
	v_add_f64 v[56:57], v[52:53], -v[50:51]
	v_add_f64 v[28:29], v[48:49], -v[28:29]
	v_fma_f64 v[42:43], v[24:25], 2.0, -v[32:33]
	v_fma_f64 v[44:45], v[44:45], s[8:9], v[6:7]
	v_add_f64 v[84:85], v[34:35], v[8:9]
	v_add_f64 v[6:7], v[0:1], v[80:81]
	v_fma_f64 v[86:87], v[78:79], s[8:9], v[10:11]
	v_fma_f64 v[10:11], v[40:41], s[2:3], v[60:61]
	s_mov_b32 s14, 0xa6aea964
	v_fma_f64 v[58:59], v[62:63], s[6:7], v[46:47]
	s_mov_b32 s7, 0x3fed906b
	s_mov_b32 s6, s2
	;; [unrolled: 1-line block ×3, first 2 shown]
	v_fma_f64 v[72:73], v[52:53], 2.0, -v[56:57]
	v_fma_f64 v[22:23], v[22:23], 2.0, -v[36:37]
	v_add_f64 v[4:5], v[28:29], -v[4:5]
	v_fma_f64 v[24:25], v[6:7], s[8:9], v[84:85]
	v_fma_f64 v[46:47], v[44:45], s[6:7], v[86:87]
	v_fma_f64 v[50:51], v[2:3], 2.0, -v[0:1]
	v_fma_f64 v[2:3], v[42:43], s[14:15], v[10:11]
	v_fma_f64 v[10:11], v[38:39], s[14:15], v[91:92]
	v_fma_f64 v[62:63], v[48:49], 2.0, -v[28:29]
	v_add_f64 v[0:1], v[72:73], -v[22:23]
	v_fma_f64 v[48:49], v[80:81], 2.0, -v[6:7]
	v_fma_f64 v[22:23], v[4:5], s[8:9], v[24:25]
	v_fma_f64 v[24:25], v[58:59], s[14:15], v[46:47]
	v_fma_f64 v[52:53], v[28:29], 2.0, -v[4:5]
	v_mul_f64 v[64:65], v[64:65], s[8:9]
	v_fma_f64 v[28:29], v[32:33], s[6:7], v[10:11]
	v_mul_f64 v[80:81], v[76:77], s[8:9]
	v_mul_f64 v[76:77], v[74:75], s[8:9]
	;; [unrolled: 1-line block ×3, first 2 shown]
	v_add_f64 v[78:79], v[62:63], -v[50:51]
	v_fma_f64 v[46:47], v[70:71], 2.0, -v[44:45]
	v_fma_f64 v[50:51], v[89:90], 2.0, -v[58:59]
	v_mul_f64 v[48:49], v[48:49], s[8:9]
	v_mul_f64 v[52:53], v[52:53], s[8:9]
	;; [unrolled: 1-line block ×4, first 2 shown]
	v_fma_f64 v[4:5], v[84:85], 2.0, -v[22:23]
	v_fma_f64 v[6:7], v[86:87], 2.0, -v[24:25]
	;; [unrolled: 1-line block ×3, first 2 shown]
	s_and_saveexec_b64 s[8:9], s[0:1]
	s_cbranch_execz .LBB0_13
; %bb.12:
	v_fma_f64 v[93:94], v[26:27], 2.0, -v[86:87]
	v_fma_f64 v[97:98], v[8:9], 2.0, -v[84:85]
	s_mov_b32 s17, 0xbfd87de2
	s_mov_b32 s16, s14
	v_add_f64 v[26:27], v[78:79], v[56:57]
	v_fma_f64 v[91:92], v[60:61], 2.0, -v[2:3]
	v_fma_f64 v[89:90], v[72:73], 2.0, -v[0:1]
	v_fma_f64 v[8:9], v[46:47], s[16:17], v[93:94]
	v_add_f64 v[84:85], v[97:98], -v[48:49]
	v_fma_f64 v[86:87], v[50:51], s[6:7], v[8:9]
	v_add_f64 v[84:85], v[52:53], v[84:85]
	v_fma_f64 v[8:9], v[56:57], 2.0, -v[26:27]
	v_lshl_add_u32 v56, v88, 7, 0
	v_fma_f64 v[95:96], v[93:94], 2.0, -v[86:87]
	v_fma_f64 v[93:94], v[97:98], 2.0, -v[84:85]
	ds_write_b128 v56, v[4:7] offset:48
	ds_write_b128 v56, v[0:3] offset:64
	ds_write_b128 v56, v[89:92]
	ds_write_b128 v56, v[26:29] offset:96
	ds_write_b128 v56, v[8:11] offset:32
	;; [unrolled: 1-line block ×5, first 2 shown]
.LBB0_13:
	s_or_b64 exec, exec, s[8:9]
	v_add_f64 v[8:9], v[20:21], -v[16:17]
	v_fma_f64 v[12:13], v[12:13], 2.0, -v[54:55]
	v_fma_f64 v[18:19], v[18:19], 2.0, -v[34:35]
	s_waitcnt lgkmcnt(0)
	s_barrier
	v_add_f64 v[56:57], v[8:9], -v[14:15]
	v_fma_f64 v[14:15], v[20:21], 2.0, -v[8:9]
	v_fma_f64 v[8:9], v[8:9], 2.0, -v[56:57]
	v_add_f64 v[60:61], v[14:15], -v[12:13]
	v_add_f64 v[12:13], v[56:57], v[82:83]
	v_add_f64 v[16:17], v[8:9], -v[80:81]
	v_fma_f64 v[14:15], v[14:15], 2.0, -v[60:61]
	v_add_f64 v[72:73], v[60:61], -v[30:31]
	v_add_f64 v[76:77], v[12:13], -v[76:77]
	v_fma_f64 v[12:13], v[62:63], 2.0, -v[78:79]
	v_lshl_add_u32 v62, v88, 3, 0
	ds_read2_b64 v[24:27], v62 offset1:160
	v_add_f64 v[22:23], v[16:17], -v[64:65]
	v_add_f64 v[20:21], v[14:15], -v[18:19]
	v_add_f64 v[16:17], v[74:75], v[72:73]
	v_fma_f64 v[18:19], v[58:59], s[6:7], v[76:77]
	v_fma_f64 v[54:55], v[8:9], 2.0, -v[22:23]
	v_fma_f64 v[8:9], v[32:33], s[14:15], v[22:23]
	s_mov_b32 s15, 0xbfd87de2
	v_fma_f64 v[58:59], v[14:15], 2.0, -v[20:21]
	v_add_f64 v[32:33], v[16:17], -v[70:71]
	v_fma_f64 v[34:35], v[44:45], s[14:15], v[18:19]
	v_fma_f64 v[14:15], v[42:43], s[2:3], v[54:55]
	;; [unrolled: 1-line block ×3, first 2 shown]
	v_add_f64 v[12:13], v[58:59], -v[12:13]
	v_fma_f64 v[16:17], v[72:73], 2.0, -v[32:33]
	v_fma_f64 v[18:19], v[76:77], 2.0, -v[34:35]
	v_fma_f64 v[14:15], v[40:41], s[14:15], v[14:15]
	v_fma_f64 v[22:23], v[22:23], 2.0, -v[38:39]
	v_add_u32_e32 v40, 0x800, v62
	ds_read2_b64 v[28:31], v40 offset0:64 offset1:224
	ds_read_b64 v[8:9], v62 offset:5120
	s_waitcnt lgkmcnt(0)
	s_barrier
	s_and_saveexec_b64 s[2:3], s[0:1]
	s_cbranch_execz .LBB0_15
; %bb.14:
	v_fma_f64 v[60:61], v[60:61], 2.0, -v[72:73]
	v_fma_f64 v[56:57], v[56:57], 2.0, -v[76:77]
	s_mov_b32 s14, 0xa6aea964
	s_mov_b32 s0, 0xcf328d46
	v_add_f64 v[36:37], v[20:21], -v[36:37]
	s_mov_b32 s1, 0xbfed906b
	v_add_f64 v[41:42], v[60:61], -v[52:53]
	v_fma_f64 v[43:44], v[50:51], s[14:15], v[56:57]
	v_fma_f64 v[20:21], v[20:21], 2.0, -v[36:37]
	v_add_f64 v[41:42], v[41:42], -v[48:49]
	v_fma_f64 v[43:44], v[46:47], s[0:1], v[43:44]
	v_fma_f64 v[45:46], v[58:59], 2.0, -v[12:13]
	v_fma_f64 v[47:48], v[54:55], 2.0, -v[14:15]
	s_movk_i32 s0, 0x78
	v_mad_u32_u24 v53, v88, s0, v62
	v_fma_f64 v[49:50], v[60:61], 2.0, -v[41:42]
	v_fma_f64 v[51:52], v[56:57], 2.0, -v[43:44]
	ds_write_b128 v53, v[16:19] offset:48
	ds_write_b128 v53, v[12:15] offset:64
	ds_write_b128 v53, v[45:48]
	ds_write_b128 v53, v[36:39] offset:96
	ds_write_b128 v53, v[20:23] offset:32
	;; [unrolled: 1-line block ×5, first 2 shown]
.LBB0_15:
	s_or_b64 exec, exec, s[2:3]
	v_and_b32_e32 v60, 15, v88
	v_lshlrev_b32_e32 v20, 6, v60
	s_load_dwordx2 s[2:3], s[4:5], 0x0
	s_waitcnt lgkmcnt(0)
	s_barrier
	global_load_dwordx4 v[42:45], v20, s[12:13]
	global_load_dwordx4 v[48:51], v20, s[12:13] offset:16
	global_load_dwordx4 v[52:55], v20, s[12:13] offset:32
	global_load_dwordx4 v[56:59], v20, s[12:13] offset:48
	ds_read2_b64 v[32:35], v62 offset1:160
	ds_read2_b64 v[70:73], v40 offset0:64 offset1:224
	ds_read_b64 v[20:21], v62 offset:5120
	s_mov_b32 s4, 0x134454ff
	s_mov_b32 s5, 0xbfee6f0e
	;; [unrolled: 1-line block ×10, first 2 shown]
	s_movk_i32 s0, 0x50
	v_cmp_gt_u32_e64 s[0:1], s0, v88
	s_waitcnt vmcnt(0) lgkmcnt(0)
	s_barrier
	v_mul_f64 v[36:37], v[34:35], v[44:45]
	v_mul_f64 v[38:39], v[70:71], v[50:51]
	;; [unrolled: 1-line block ×8, first 2 shown]
	v_fma_f64 v[36:37], v[26:27], v[42:43], v[36:37]
	v_fma_f64 v[38:39], v[28:29], v[48:49], v[38:39]
	;; [unrolled: 1-line block ×4, first 2 shown]
	v_fma_f64 v[44:45], v[34:35], v[42:43], -v[44:45]
	v_fma_f64 v[42:43], v[70:71], v[48:49], -v[50:51]
	v_fma_f64 v[34:35], v[72:73], v[52:53], -v[54:55]
	v_fma_f64 v[20:21], v[20:21], v[56:57], -v[58:59]
	v_add_f64 v[28:29], v[24:25], v[36:37]
	v_add_f64 v[52:53], v[38:39], -v[36:37]
	v_add_f64 v[8:9], v[38:39], v[40:41]
	v_add_f64 v[26:27], v[36:37], v[46:47]
	v_add_f64 v[50:51], v[46:47], -v[40:41]
	v_add_f64 v[54:55], v[40:41], -v[46:47]
	;; [unrolled: 1-line block ×4, first 2 shown]
	v_add_f64 v[28:29], v[28:29], v[38:39]
	v_fma_f64 v[8:9], v[8:9], -0.5, v[24:25]
	v_fma_f64 v[24:25], v[26:27], -0.5, v[24:25]
	v_add_f64 v[26:27], v[36:37], -v[38:39]
	v_add_f64 v[52:53], v[52:53], v[54:55]
	v_fma_f64 v[56:57], v[30:31], s[4:5], v[8:9]
	v_fma_f64 v[58:59], v[48:49], s[16:17], v[24:25]
	;; [unrolled: 1-line block ×4, first 2 shown]
	v_add_f64 v[50:51], v[26:27], v[50:51]
	v_add_f64 v[26:27], v[28:29], v[40:41]
	v_fma_f64 v[28:29], v[48:49], s[6:7], v[56:57]
	v_fma_f64 v[54:55], v[30:31], s[6:7], v[58:59]
	;; [unrolled: 1-line block ×4, first 2 shown]
	v_lshrrev_b32_e32 v24, 4, v88
	v_mul_u32_u24_e32 v48, 0x50, v24
	v_add_f64 v[24:25], v[26:27], v[46:47]
	v_or_b32_e32 v48, v48, v60
	v_fma_f64 v[26:27], v[50:51], s[8:9], v[28:29]
	v_fma_f64 v[28:29], v[52:53], s[8:9], v[54:55]
	;; [unrolled: 1-line block ×4, first 2 shown]
	v_lshl_add_u32 v48, v48, 3, 0
	ds_write2_b64 v48, v[24:25], v[26:27] offset1:16
	ds_write2_b64 v48, v[28:29], v[30:31] offset0:32 offset1:48
	ds_write_b64 v48, v[8:9] offset:512
	s_waitcnt lgkmcnt(0)
	s_barrier
	s_and_saveexec_b64 s[18:19], s[0:1]
	s_cbranch_execz .LBB0_17
; %bb.16:
	v_add_u32_e32 v0, 0x800, v62
	ds_read2_b64 v[24:27], v62 offset1:80
	ds_read2_b64 v[28:31], v62 offset0:160 offset1:240
	ds_read2_b64 v[8:11], v0 offset0:64 offset1:144
	v_add_u32_e32 v0, 0xc00, v62
	ds_read2_b64 v[4:7], v0 offset0:96 offset1:176
	v_add_u32_e32 v0, 0x1000, v62
	ds_read2_b64 v[0:3], v0 offset0:128 offset1:208
.LBB0_17:
	s_or_b64 exec, exec, s[18:19]
	v_add_f64 v[49:50], v[42:43], v[34:35]
	v_add_f64 v[51:52], v[44:45], v[20:21]
	;; [unrolled: 1-line block ×3, first 2 shown]
	v_add_f64 v[36:37], v[36:37], -v[46:47]
	v_add_f64 v[38:39], v[38:39], -v[40:41]
	;; [unrolled: 1-line block ×4, first 2 shown]
	s_waitcnt lgkmcnt(0)
	v_fma_f64 v[40:41], v[49:50], -0.5, v[32:33]
	v_fma_f64 v[32:33], v[51:52], -0.5, v[32:33]
	v_add_f64 v[49:50], v[20:21], -v[34:35]
	v_add_f64 v[51:52], v[34:35], -v[20:21]
	v_add_f64 v[42:43], v[53:54], v[42:43]
	s_barrier
	v_fma_f64 v[53:54], v[36:37], s[16:17], v[40:41]
	v_fma_f64 v[55:56], v[38:39], s[4:5], v[32:33]
	;; [unrolled: 1-line block ×4, first 2 shown]
	v_add_f64 v[46:47], v[46:47], v[49:50]
	v_add_f64 v[44:45], v[44:45], v[51:52]
	;; [unrolled: 1-line block ×3, first 2 shown]
	v_fma_f64 v[42:43], v[38:39], s[14:15], v[53:54]
	v_fma_f64 v[49:50], v[36:37], s[14:15], v[55:56]
	v_fma_f64 v[51:52], v[36:37], s[6:7], v[32:33]
	v_fma_f64 v[40:41], v[38:39], s[6:7], v[40:41]
	v_add_f64 v[32:33], v[34:35], v[20:21]
	v_fma_f64 v[34:35], v[46:47], s[8:9], v[42:43]
	v_fma_f64 v[36:37], v[44:45], s[8:9], v[49:50]
	v_fma_f64 v[38:39], v[44:45], s[8:9], v[51:52]
	v_fma_f64 v[20:21], v[46:47], s[8:9], v[40:41]
	ds_write2_b64 v48, v[32:33], v[34:35] offset1:16
	ds_write2_b64 v48, v[36:37], v[38:39] offset0:32 offset1:48
	ds_write_b64 v48, v[20:21] offset:512
	s_waitcnt lgkmcnt(0)
	s_barrier
	s_and_saveexec_b64 s[4:5], s[0:1]
	s_cbranch_execnz .LBB0_20
; %bb.18:
	s_or_b64 exec, exec, s[4:5]
	s_and_b64 s[0:1], vcc, s[0:1]
	s_and_saveexec_b64 s[4:5], s[0:1]
	s_cbranch_execnz .LBB0_21
.LBB0_19:
	s_endpgm
.LBB0_20:
	v_add_u32_e32 v12, 0x800, v62
	ds_read2_b64 v[32:35], v62 offset1:80
	ds_read2_b64 v[36:39], v62 offset0:160 offset1:240
	ds_read2_b64 v[20:23], v12 offset0:64 offset1:144
	v_add_u32_e32 v12, 0xc00, v62
	ds_read2_b64 v[16:19], v12 offset0:96 offset1:176
	v_add_u32_e32 v12, 0x1000, v62
	ds_read2_b64 v[12:15], v12 offset0:128 offset1:208
	s_or_b64 exec, exec, s[4:5]
	s_and_b64 s[0:1], vcc, s[0:1]
	s_and_saveexec_b64 s[4:5], s[0:1]
	s_cbranch_execz .LBB0_19
.LBB0_21:
	v_mul_u32_u24_e32 v40, 9, v88
	v_lshlrev_b32_e32 v64, 4, v40
	global_load_dwordx4 v[40:43], v64, s[12:13] offset:1040
	global_load_dwordx4 v[44:47], v64, s[12:13] offset:1072
	;; [unrolled: 1-line block ×9, first 2 shown]
	v_mul_lo_u32 v82, s3, v68
	v_mul_lo_u32 v69, s2, v69
	v_mad_u64_u32 v[64:65], s[0:1], s2, v68, 0
	s_mov_b32 s4, 0x134454ff
	s_mov_b32 s5, 0xbfee6f0e
	v_add3_u32 v65, v65, v69, v82
	s_mov_b32 s9, 0x3fee6f0e
	s_mov_b32 s8, s4
	s_mov_b32 s2, 0x4755a5e
	s_mov_b32 s3, 0xbfe2cf23
	s_mov_b32 s7, 0x3fe2cf23
	s_mov_b32 s6, s2
	s_mov_b32 s0, 0x372fe950
	s_mov_b32 s1, 0x3fd3c6ef
	s_mov_b32 s12, 0x9b97f4a8
	s_mov_b32 s13, 0xbfe9e377
	s_mov_b32 s17, 0x3fe9e377
	s_mov_b32 s16, s12
	s_mov_b32 s15, 0xbfd3c6ef
	s_mov_b32 s14, s0
	s_waitcnt vmcnt(8)
	v_mul_f64 v[68:69], v[28:29], v[42:43]
	s_waitcnt vmcnt(7)
	v_mul_f64 v[82:83], v[8:9], v[46:47]
	;; [unrolled: 2-line block ×4, first 2 shown]
	s_waitcnt lgkmcnt(3)
	v_mul_f64 v[42:43], v[36:37], v[42:43]
	s_waitcnt vmcnt(4)
	v_mul_f64 v[89:90], v[38:39], v[58:59]
	s_waitcnt vmcnt(3) lgkmcnt(2)
	v_mul_f64 v[91:92], v[22:23], v[62:63]
	s_waitcnt vmcnt(2) lgkmcnt(0)
	v_mul_f64 v[93:94], v[14:15], v[72:73]
	s_waitcnt vmcnt(1)
	v_mul_f64 v[95:96], v[18:19], v[76:77]
	v_mul_f64 v[62:63], v[10:11], v[62:63]
	;; [unrolled: 1-line block ×6, first 2 shown]
	s_waitcnt vmcnt(0)
	v_mul_f64 v[97:98], v[34:35], v[80:81]
	v_mul_f64 v[58:59], v[30:31], v[58:59]
	;; [unrolled: 1-line block ×4, first 2 shown]
	v_fma_f64 v[36:37], v[36:37], v[40:41], -v[68:69]
	v_fma_f64 v[20:21], v[20:21], v[44:45], -v[82:83]
	;; [unrolled: 1-line block ×4, first 2 shown]
	v_fma_f64 v[28:29], v[28:29], v[40:41], v[42:43]
	v_fma_f64 v[30:31], v[30:31], v[56:57], v[89:90]
	;; [unrolled: 1-line block ×5, first 2 shown]
	v_fma_f64 v[2:3], v[22:23], v[60:61], -v[62:63]
	v_fma_f64 v[18:19], v[18:19], v[74:75], -v[76:77]
	v_fma_f64 v[0:1], v[0:1], v[48:49], v[50:51]
	v_fma_f64 v[8:9], v[8:9], v[44:45], v[46:47]
	;; [unrolled: 1-line block ×4, first 2 shown]
	v_fma_f64 v[6:7], v[38:39], v[56:57], -v[58:59]
	v_fma_f64 v[14:15], v[14:15], v[70:71], -v[72:73]
	v_fma_f64 v[26:27], v[34:35], v[78:79], -v[80:81]
	v_add_f64 v[34:35], v[36:37], -v[20:21]
	v_add_f64 v[38:39], v[12:13], -v[16:17]
	v_add_f64 v[44:45], v[20:21], v[16:17]
	v_add_f64 v[50:51], v[30:31], -v[10:11]
	v_add_f64 v[52:53], v[40:41], -v[42:43]
	v_add_f64 v[56:57], v[10:11], v[42:43]
	v_add_f64 v[68:69], v[2:3], v[18:19]
	;; [unrolled: 1-line block ×3, first 2 shown]
	v_add_f64 v[48:49], v[8:9], -v[4:5]
	v_add_f64 v[60:61], v[6:7], -v[2:3]
	v_add_f64 v[62:63], v[14:15], -v[18:19]
	v_add_f64 v[70:71], v[30:31], -v[40:41]
	v_add_f64 v[74:75], v[20:21], -v[36:37]
	v_add_f64 v[76:77], v[16:17], -v[12:13]
	v_add_f64 v[80:81], v[10:11], -v[30:31]
	v_add_f64 v[82:83], v[42:43], -v[40:41]
	v_add_f64 v[84:85], v[30:31], v[40:41]
	v_add_f64 v[86:87], v[2:3], -v[6:7]
	v_add_f64 v[89:90], v[18:19], -v[14:15]
	v_add_f64 v[93:94], v[32:33], v[36:37]
	v_add_f64 v[34:35], v[34:35], v[38:39]
	v_fma_f64 v[38:39], v[44:45], -0.5, v[32:33]
	v_add_f64 v[44:45], v[50:51], v[52:53]
	v_fma_f64 v[50:51], v[56:57], -0.5, v[22:23]
	v_fma_f64 v[56:57], v[68:69], -0.5, v[26:27]
	;; [unrolled: 1-line block ×3, first 2 shown]
	v_add_f64 v[91:92], v[6:7], v[14:15]
	v_add_f64 v[46:47], v[28:29], -v[0:1]
	v_add_f64 v[54:55], v[2:3], -v[18:19]
	;; [unrolled: 1-line block ×4, first 2 shown]
	v_add_f64 v[6:7], v[6:7], v[26:27]
	v_add_f64 v[52:53], v[60:61], v[62:63]
	;; [unrolled: 1-line block ×4, first 2 shown]
	v_fma_f64 v[68:69], v[84:85], -0.5, v[22:23]
	v_add_f64 v[74:75], v[86:87], v[89:90]
	v_fma_f64 v[82:83], v[70:71], s[4:5], v[56:57]
	v_fma_f64 v[86:87], v[48:49], s[8:9], v[32:33]
	;; [unrolled: 1-line block ×4, first 2 shown]
	v_fma_f64 v[26:27], v[91:92], -0.5, v[26:27]
	v_add_f64 v[78:79], v[2:3], v[6:7]
	v_fma_f64 v[2:3], v[46:47], s[4:5], v[38:39]
	v_fma_f64 v[6:7], v[58:59], s[8:9], v[50:51]
	;; [unrolled: 1-line block ×9, first 2 shown]
	v_add_f64 v[95:96], v[8:9], v[4:5]
	v_add_f64 v[76:77], v[93:94], v[20:21]
	v_fma_f64 v[84:85], v[72:73], s[8:9], v[26:27]
	v_fma_f64 v[26:27], v[72:73], s[4:5], v[26:27]
	v_fma_f64 v[82:83], v[72:73], s[2:3], v[82:83]
	v_fma_f64 v[6:7], v[54:55], s[6:7], v[6:7]
	v_fma_f64 v[89:90], v[58:59], s[6:7], v[89:90]
	v_fma_f64 v[58:59], v[58:59], s[2:3], v[68:69]
	v_fma_f64 v[50:51], v[54:55], s[2:3], v[50:51]
	v_fma_f64 v[46:47], v[52:53], s[0:1], v[46:47]
	v_add_f64 v[36:37], v[36:37], -v[12:13]
	v_fma_f64 v[80:81], v[95:96], -0.5, v[24:25]
	v_fma_f64 v[84:85], v[70:71], s[2:3], v[84:85]
	v_add_f64 v[76:77], v[76:77], v[16:17]
	v_fma_f64 v[26:27], v[70:71], s[6:7], v[26:27]
	v_add_f64 v[16:17], v[20:21], -v[16:17]
	v_add_f64 v[20:21], v[28:29], v[0:1]
	v_fma_f64 v[2:3], v[48:49], s[2:3], v[2:3]
	v_fma_f64 v[82:83], v[52:53], s[0:1], v[82:83]
	;; [unrolled: 1-line block ×9, first 2 shown]
	v_mul_f64 v[58:59], v[46:47], s[16:17]
	v_add_f64 v[60:61], v[28:29], -v[8:9]
	v_add_f64 v[62:63], v[0:1], -v[4:5]
	v_add_f64 v[18:19], v[18:19], v[78:79]
	v_fma_f64 v[84:85], v[74:75], s[0:1], v[84:85]
	v_fma_f64 v[26:27], v[74:75], s[0:1], v[26:27]
	;; [unrolled: 1-line block ×3, first 2 shown]
	v_fma_f64 v[20:21], v[20:21], -0.5, v[24:25]
	v_add_f64 v[24:25], v[24:25], v[28:29]
	v_add_f64 v[22:23], v[30:31], v[22:23]
	v_mul_f64 v[6:7], v[82:83], s[12:13]
	v_fma_f64 v[54:55], v[34:35], s[0:1], v[2:3]
	v_fma_f64 v[34:35], v[34:35], s[0:1], v[38:39]
	;; [unrolled: 1-line block ×3, first 2 shown]
	v_add_f64 v[58:59], v[12:13], v[76:77]
	v_add_f64 v[12:13], v[60:61], v[62:63]
	;; [unrolled: 1-line block ×3, first 2 shown]
	v_mul_f64 v[14:15], v[82:83], s[2:3]
	v_fma_f64 v[60:61], v[16:17], s[6:7], v[74:75]
	v_add_f64 v[18:19], v[8:9], -v[28:29]
	v_add_f64 v[74:75], v[4:5], -v[0:1]
	v_fma_f64 v[28:29], v[16:17], s[4:5], v[20:21]
	v_fma_f64 v[20:21], v[16:17], s[8:9], v[20:21]
	v_add_f64 v[8:9], v[24:25], v[8:9]
	v_add_f64 v[10:11], v[10:11], v[22:23]
	v_fma_f64 v[52:53], v[56:57], s[6:7], v[6:7]
	v_fma_f64 v[56:57], v[56:57], s[12:13], v[14:15]
	;; [unrolled: 1-line block ×3, first 2 shown]
	v_mul_f64 v[50:51], v[26:27], s[0:1]
	v_add_f64 v[18:19], v[18:19], v[74:75]
	v_fma_f64 v[22:23], v[36:37], s[6:7], v[28:29]
	v_mul_f64 v[24:25], v[84:85], s[4:5]
	v_fma_f64 v[20:21], v[36:37], s[2:3], v[20:21]
	v_mul_f64 v[26:27], v[26:27], s[4:5]
	v_add_f64 v[4:5], v[8:9], v[4:5]
	v_add_f64 v[8:9], v[42:43], v[10:11]
	v_fma_f64 v[14:15], v[16:17], s[2:3], v[14:15]
	v_mul_f64 v[16:17], v[46:47], s[2:3]
	v_fma_f64 v[50:51], v[48:49], s[8:9], v[50:51]
	v_fma_f64 v[28:29], v[18:19], s[0:1], v[22:23]
	;; [unrolled: 1-line block ×5, first 2 shown]
	v_add_f64 v[48:49], v[0:1], v[4:5]
	v_add_f64 v[40:41], v[40:41], v[8:9]
	v_fma_f64 v[46:47], v[12:13], s[0:1], v[14:15]
	v_fma_f64 v[44:45], v[44:45], s[16:17], v[16:17]
	;; [unrolled: 1-line block ×3, first 2 shown]
	v_add_f64 v[10:11], v[32:33], -v[50:51]
	v_add_f64 v[30:31], v[32:33], v[50:51]
	v_mad_u64_u32 v[50:51], s[0:1], s20, v88, 0
	v_add_f64 v[4:5], v[28:29], -v[24:25]
	v_add_f64 v[24:25], v[28:29], v[24:25]
	v_mov_b32_e32 v28, v51
	v_add_f64 v[2:3], v[54:55], -v[52:53]
	v_add_f64 v[8:9], v[36:37], -v[42:43]
	;; [unrolled: 1-line block ×3, first 2 shown]
	v_add_f64 v[22:23], v[54:55], v[52:53]
	v_mad_u64_u32 v[51:52], s[0:1], s21, v88, v[28:29]
	v_add_f64 v[28:29], v[36:37], v[42:43]
	v_add_f64 v[36:37], v[48:49], v[40:41]
	v_lshlrev_b64 v[40:41], 4, v[64:65]
	v_add_f64 v[14:15], v[34:35], -v[38:39]
	v_add_f64 v[12:13], v[46:47], -v[44:45]
	v_add_f64 v[34:35], v[34:35], v[38:39]
	v_add_f64 v[38:39], v[58:59], v[62:63]
	;; [unrolled: 1-line block ×3, first 2 shown]
	v_mov_b32_e32 v42, s11
	v_add_co_u32_e32 v44, vcc, s10, v40
	v_addc_co_u32_e32 v45, vcc, v42, v41, vcc
	v_lshlrev_b64 v[40:41], 4, v[66:67]
	v_add_u32_e32 v46, 0x50, v88
	v_add_co_u32_e32 v47, vcc, v44, v40
	v_addc_co_u32_e32 v45, vcc, v45, v41, vcc
	v_lshlrev_b64 v[40:41], 4, v[50:51]
	v_mad_u64_u32 v[42:43], s[0:1], s20, v46, 0
	v_mul_f64 v[72:73], v[84:85], s[14:15]
	v_add_co_u32_e32 v40, vcc, v47, v40
	v_addc_co_u32_e32 v41, vcc, v45, v41, vcc
	global_store_dwordx4 v[40:41], v[36:39], off
	v_add_u32_e32 v40, 0xa0, v88
	v_mad_u64_u32 v[43:44], s[0:1], s21, v46, v[43:44]
	v_mad_u64_u32 v[38:39], s[0:1], s20, v40, 0
	v_lshlrev_b64 v[36:37], 4, v[42:43]
	v_fma_f64 v[72:73], v[70:71], s[8:9], v[72:73]
	v_mad_u64_u32 v[39:40], s[0:1], s21, v40, v[39:40]
	v_add_co_u32_e32 v36, vcc, v47, v36
	v_add_u32_e32 v42, 0xf0, v88
	v_addc_co_u32_e32 v37, vcc, v45, v37, vcc
	v_mad_u64_u32 v[40:41], s[0:1], s20, v42, 0
	global_store_dwordx4 v[36:37], v[32:35], off
	v_add_f64 v[26:27], v[68:69], v[72:73]
	v_lshlrev_b64 v[32:33], 4, v[38:39]
	v_mov_b32_e32 v34, v41
	v_add_co_u32_e32 v32, vcc, v47, v32
	v_addc_co_u32_e32 v33, vcc, v45, v33, vcc
	v_mad_u64_u32 v[34:35], s[0:1], s21, v42, v[34:35]
	global_store_dwordx4 v[32:33], v[28:31], off
	v_add_u32_e32 v32, 0x140, v88
	v_mad_u64_u32 v[30:31], s[0:1], s20, v32, 0
	v_mov_b32_e32 v41, v34
	v_add_f64 v[20:21], v[60:61], v[56:57]
	v_lshlrev_b64 v[28:29], 4, v[40:41]
	v_mad_u64_u32 v[31:32], s[0:1], s21, v32, v[31:32]
	v_add_co_u32_e32 v28, vcc, v47, v28
	v_add_u32_e32 v34, 0x190, v88
	v_addc_co_u32_e32 v29, vcc, v45, v29, vcc
	v_mad_u64_u32 v[32:33], s[0:1], s20, v34, 0
	global_store_dwordx4 v[28:29], v[24:27], off
	v_add_f64 v[18:19], v[58:59], -v[62:63]
	v_lshlrev_b64 v[24:25], 4, v[30:31]
	v_mov_b32_e32 v26, v33
	v_add_co_u32_e32 v24, vcc, v47, v24
	v_addc_co_u32_e32 v25, vcc, v45, v25, vcc
	v_mad_u64_u32 v[26:27], s[0:1], s21, v34, v[26:27]
	global_store_dwordx4 v[24:25], v[20:23], off
	v_add_u32_e32 v24, 0x1e0, v88
	v_mad_u64_u32 v[22:23], s[0:1], s20, v24, 0
	v_mov_b32_e32 v33, v26
	v_lshlrev_b64 v[20:21], 4, v[32:33]
	v_mad_u64_u32 v[23:24], s[0:1], s21, v24, v[23:24]
	v_add_co_u32_e32 v20, vcc, v47, v20
	v_addc_co_u32_e32 v21, vcc, v45, v21, vcc
	v_add_u32_e32 v26, 0x230, v88
	v_mad_u64_u32 v[24:25], s[0:1], s20, v26, 0
	global_store_dwordx4 v[20:21], v[16:19], off
	v_add_f64 v[6:7], v[68:69], -v[72:73]
	v_lshlrev_b64 v[16:17], 4, v[22:23]
	v_mov_b32_e32 v18, v25
	v_add_co_u32_e32 v16, vcc, v47, v16
	v_addc_co_u32_e32 v17, vcc, v45, v17, vcc
	global_store_dwordx4 v[16:17], v[12:15], off
	v_or_b32_e32 v16, 0x280, v88
	v_mad_u64_u32 v[18:19], s[0:1], s21, v26, v[18:19]
	v_mad_u64_u32 v[14:15], s[0:1], s20, v16, 0
	v_mov_b32_e32 v25, v18
	v_add_u32_e32 v18, 0x2d0, v88
	v_mad_u64_u32 v[15:16], s[0:1], s21, v16, v[15:16]
	v_lshlrev_b64 v[12:13], 4, v[24:25]
	v_mad_u64_u32 v[16:17], s[0:1], s20, v18, 0
	v_add_co_u32_e32 v12, vcc, v47, v12
	v_addc_co_u32_e32 v13, vcc, v45, v13, vcc
	global_store_dwordx4 v[12:13], v[8:11], off
	v_add_f64 v[0:1], v[60:61], -v[56:57]
	v_mov_b32_e32 v10, v17
	v_mad_u64_u32 v[10:11], s[0:1], s21, v18, v[10:11]
	v_lshlrev_b64 v[8:9], 4, v[14:15]
	v_add_co_u32_e32 v8, vcc, v47, v8
	v_addc_co_u32_e32 v9, vcc, v45, v9, vcc
	v_mov_b32_e32 v17, v10
	global_store_dwordx4 v[8:9], v[4:7], off
	s_nop 0
	v_lshlrev_b64 v[4:5], 4, v[16:17]
	v_add_co_u32_e32 v4, vcc, v47, v4
	v_addc_co_u32_e32 v5, vcc, v45, v5, vcc
	global_store_dwordx4 v[4:5], v[0:3], off
	s_endpgm
	.section	.rodata,"a",@progbits
	.p2align	6, 0x0
	.amdhsa_kernel fft_rtc_back_len800_factors_16_5_10_wgs_160_tpt_160_halfLds_dp_op_CI_CI_sbrr_dirReg
		.amdhsa_group_segment_fixed_size 0
		.amdhsa_private_segment_fixed_size 0
		.amdhsa_kernarg_size 104
		.amdhsa_user_sgpr_count 6
		.amdhsa_user_sgpr_private_segment_buffer 1
		.amdhsa_user_sgpr_dispatch_ptr 0
		.amdhsa_user_sgpr_queue_ptr 0
		.amdhsa_user_sgpr_kernarg_segment_ptr 1
		.amdhsa_user_sgpr_dispatch_id 0
		.amdhsa_user_sgpr_flat_scratch_init 0
		.amdhsa_user_sgpr_private_segment_size 0
		.amdhsa_uses_dynamic_stack 0
		.amdhsa_system_sgpr_private_segment_wavefront_offset 0
		.amdhsa_system_sgpr_workgroup_id_x 1
		.amdhsa_system_sgpr_workgroup_id_y 0
		.amdhsa_system_sgpr_workgroup_id_z 0
		.amdhsa_system_sgpr_workgroup_info 0
		.amdhsa_system_vgpr_workitem_id 0
		.amdhsa_next_free_vgpr 99
		.amdhsa_next_free_sgpr 32
		.amdhsa_reserve_vcc 1
		.amdhsa_reserve_flat_scratch 0
		.amdhsa_float_round_mode_32 0
		.amdhsa_float_round_mode_16_64 0
		.amdhsa_float_denorm_mode_32 3
		.amdhsa_float_denorm_mode_16_64 3
		.amdhsa_dx10_clamp 1
		.amdhsa_ieee_mode 1
		.amdhsa_fp16_overflow 0
		.amdhsa_exception_fp_ieee_invalid_op 0
		.amdhsa_exception_fp_denorm_src 0
		.amdhsa_exception_fp_ieee_div_zero 0
		.amdhsa_exception_fp_ieee_overflow 0
		.amdhsa_exception_fp_ieee_underflow 0
		.amdhsa_exception_fp_ieee_inexact 0
		.amdhsa_exception_int_div_zero 0
	.end_amdhsa_kernel
	.text
.Lfunc_end0:
	.size	fft_rtc_back_len800_factors_16_5_10_wgs_160_tpt_160_halfLds_dp_op_CI_CI_sbrr_dirReg, .Lfunc_end0-fft_rtc_back_len800_factors_16_5_10_wgs_160_tpt_160_halfLds_dp_op_CI_CI_sbrr_dirReg
                                        ; -- End function
	.section	.AMDGPU.csdata,"",@progbits
; Kernel info:
; codeLenInByte = 7192
; NumSgprs: 36
; NumVgprs: 99
; ScratchSize: 0
; MemoryBound: 1
; FloatMode: 240
; IeeeMode: 1
; LDSByteSize: 0 bytes/workgroup (compile time only)
; SGPRBlocks: 4
; VGPRBlocks: 24
; NumSGPRsForWavesPerEU: 36
; NumVGPRsForWavesPerEU: 99
; Occupancy: 2
; WaveLimiterHint : 1
; COMPUTE_PGM_RSRC2:SCRATCH_EN: 0
; COMPUTE_PGM_RSRC2:USER_SGPR: 6
; COMPUTE_PGM_RSRC2:TRAP_HANDLER: 0
; COMPUTE_PGM_RSRC2:TGID_X_EN: 1
; COMPUTE_PGM_RSRC2:TGID_Y_EN: 0
; COMPUTE_PGM_RSRC2:TGID_Z_EN: 0
; COMPUTE_PGM_RSRC2:TIDIG_COMP_CNT: 0
	.type	__hip_cuid_39ee2dbb14601d0c,@object ; @__hip_cuid_39ee2dbb14601d0c
	.section	.bss,"aw",@nobits
	.globl	__hip_cuid_39ee2dbb14601d0c
__hip_cuid_39ee2dbb14601d0c:
	.byte	0                               ; 0x0
	.size	__hip_cuid_39ee2dbb14601d0c, 1

	.ident	"AMD clang version 19.0.0git (https://github.com/RadeonOpenCompute/llvm-project roc-6.4.0 25133 c7fe45cf4b819c5991fe208aaa96edf142730f1d)"
	.section	".note.GNU-stack","",@progbits
	.addrsig
	.addrsig_sym __hip_cuid_39ee2dbb14601d0c
	.amdgpu_metadata
---
amdhsa.kernels:
  - .args:
      - .actual_access:  read_only
        .address_space:  global
        .offset:         0
        .size:           8
        .value_kind:     global_buffer
      - .offset:         8
        .size:           8
        .value_kind:     by_value
      - .actual_access:  read_only
        .address_space:  global
        .offset:         16
        .size:           8
        .value_kind:     global_buffer
      - .actual_access:  read_only
        .address_space:  global
        .offset:         24
        .size:           8
        .value_kind:     global_buffer
      - .actual_access:  read_only
        .address_space:  global
        .offset:         32
        .size:           8
        .value_kind:     global_buffer
      - .offset:         40
        .size:           8
        .value_kind:     by_value
      - .actual_access:  read_only
        .address_space:  global
        .offset:         48
        .size:           8
        .value_kind:     global_buffer
      - .actual_access:  read_only
        .address_space:  global
        .offset:         56
        .size:           8
        .value_kind:     global_buffer
      - .offset:         64
        .size:           4
        .value_kind:     by_value
      - .actual_access:  read_only
        .address_space:  global
        .offset:         72
        .size:           8
        .value_kind:     global_buffer
      - .actual_access:  read_only
        .address_space:  global
        .offset:         80
        .size:           8
        .value_kind:     global_buffer
      - .actual_access:  read_only
        .address_space:  global
        .offset:         88
        .size:           8
        .value_kind:     global_buffer
      - .actual_access:  write_only
        .address_space:  global
        .offset:         96
        .size:           8
        .value_kind:     global_buffer
    .group_segment_fixed_size: 0
    .kernarg_segment_align: 8
    .kernarg_segment_size: 104
    .language:       OpenCL C
    .language_version:
      - 2
      - 0
    .max_flat_workgroup_size: 160
    .name:           fft_rtc_back_len800_factors_16_5_10_wgs_160_tpt_160_halfLds_dp_op_CI_CI_sbrr_dirReg
    .private_segment_fixed_size: 0
    .sgpr_count:     36
    .sgpr_spill_count: 0
    .symbol:         fft_rtc_back_len800_factors_16_5_10_wgs_160_tpt_160_halfLds_dp_op_CI_CI_sbrr_dirReg.kd
    .uniform_work_group_size: 1
    .uses_dynamic_stack: false
    .vgpr_count:     99
    .vgpr_spill_count: 0
    .wavefront_size: 64
amdhsa.target:   amdgcn-amd-amdhsa--gfx906
amdhsa.version:
  - 1
  - 2
...

	.end_amdgpu_metadata
